;; amdgpu-corpus repo=ggml-org/llama.cpp kind=compiled arch=gfx950 opt=O3
	.amdgcn_target "amdgcn-amd-amdhsa--gfx950"
	.amdhsa_code_object_version 6
	.section	.text._ZL22cross_entropy_loss_f32ILb1EEvPKfS1_Pfii,"axG",@progbits,_ZL22cross_entropy_loss_f32ILb1EEvPKfS1_Pfii,comdat
	.globl	_ZL22cross_entropy_loss_f32ILb1EEvPKfS1_Pfii ; -- Begin function _ZL22cross_entropy_loss_f32ILb1EEvPKfS1_Pfii
	.p2align	8
	.type	_ZL22cross_entropy_loss_f32ILb1EEvPKfS1_Pfii,@function
_ZL22cross_entropy_loss_f32ILb1EEvPKfS1_Pfii: ; @_ZL22cross_entropy_loss_f32ILb1EEvPKfS1_Pfii
; %bb.0:
	s_load_dwordx2 s[8:9], s[0:1], 0x18
	s_load_dwordx4 s[4:7], s[0:1], 0x8
	s_mov_b32 s3, 0
	v_mov_b32_e32 v3, 0xff800000
	v_lshlrev_b32_e32 v2, 2, v0
	s_waitcnt lgkmcnt(0)
	s_ashr_i32 s18, s8, 31
	v_cmp_gt_i32_e32 vcc, s8, v0
	s_mul_i32 s18, s18, s2
	s_mul_hi_u32 s19, s8, s2
	s_mul_i32 s10, s8, s2
	s_and_saveexec_b64 s[12:13], vcc
	s_cbranch_execz .LBB0_4
; %bb.1:
	s_load_dwordx2 s[0:1], s[0:1], 0x0
	s_add_i32 s11, s19, s18
	s_lshl_b64 s[14:15], s[10:11], 2
	v_mov_b32_e32 v3, 0
	v_add_u32_e32 v1, 0, v2
	s_waitcnt lgkmcnt(0)
	s_add_u32 s0, s0, s14
	s_addc_u32 s1, s1, s15
	v_lshl_add_u64 v[4:5], s[0:1], 0, v[2:3]
	v_mov_b32_e32 v3, 0xff800000
	s_mov_b64 s[14:15], 0
	s_mov_b64 s[16:17], 0x80
	v_mov_b32_e32 v6, v0
.LBB0_2:                                ; =>This Inner Loop Header: Depth=1
	global_load_dword v7, v[4:5], off
	v_add_u32_e32 v6, 32, v6
	v_max_f32_e32 v3, v3, v3
	v_cmp_le_i32_e64 s[0:1], s8, v6
	v_lshl_add_u64 v[4:5], v[4:5], 0, s[16:17]
	s_or_b64 s[14:15], s[0:1], s[14:15]
	s_waitcnt vmcnt(0)
	v_max_f32_e32 v8, v7, v7
	ds_write_b32 v1, v7
	v_add_u32_e32 v1, 0x80, v1
	v_max_f32_e32 v3, v3, v8
	s_andn2_b64 exec, exec, s[14:15]
	s_cbranch_execnz .LBB0_2
; %bb.3:
	s_or_b64 exec, exec, s[14:15]
.LBB0_4:
	s_or_b64 exec, exec, s[12:13]
	v_mbcnt_lo_u32_b32 v1, -1, 0
	v_mbcnt_hi_u32_b32 v4, -1, v1
	v_and_b32_e32 v1, 0x60, v4
	v_add_u32_e32 v5, 32, v1
	v_xor_b32_e32 v1, 16, v4
	v_cmp_lt_i32_e64 s[0:1], v1, v5
	v_xor_b32_e32 v7, 8, v4
	v_xor_b32_e32 v8, 4, v4
	v_cndmask_b32_e64 v1, v4, v1, s[0:1]
	v_lshlrev_b32_e32 v1, 2, v1
	ds_bpermute_b32 v6, v1, v3
	v_max_f32_e32 v3, v3, v3
	v_cmp_lt_i32_e64 s[0:1], v7, v5
	v_xor_b32_e32 v9, 2, v4
	v_xor_b32_e32 v10, 1, v4
	s_waitcnt lgkmcnt(0)
	v_max_f32_e32 v6, v6, v6
	v_max_f32_e32 v3, v3, v6
	v_cndmask_b32_e64 v6, v4, v7, s[0:1]
	v_lshlrev_b32_e32 v6, 2, v6
	ds_bpermute_b32 v7, v6, v3
	v_cmp_lt_i32_e64 s[0:1], v8, v5
	s_waitcnt lgkmcnt(0)
	v_max_f32_e32 v7, v7, v7
	v_max_f32_e32 v3, v3, v7
	v_cndmask_b32_e64 v7, v4, v8, s[0:1]
	v_lshlrev_b32_e32 v7, 2, v7
	ds_bpermute_b32 v8, v7, v3
	v_cmp_lt_i32_e64 s[0:1], v9, v5
	;; [unrolled: 7-line block ×3, first 2 shown]
	s_waitcnt lgkmcnt(0)
	v_max_f32_e32 v9, v9, v9
	v_cndmask_b32_e64 v4, v4, v10, s[0:1]
	v_max_f32_e32 v3, v3, v9
	v_lshlrev_b32_e32 v9, 2, v4
	ds_bpermute_b32 v4, v9, v3
	s_waitcnt lgkmcnt(0)
	v_max_f32_e32 v4, v4, v4
	v_max_f32_e32 v10, v3, v4
	v_mov_b32_e32 v3, 0
	s_and_saveexec_b64 s[12:13], vcc
	s_cbranch_execz .LBB0_8
; %bb.5:
	v_lshl_add_u32 v4, v0, 2, 0
	v_mov_b32_e32 v3, 0
	s_mov_b64 s[14:15], 0
	s_mov_b32 s11, 0x3fb8aa3b
	s_mov_b32 s16, 0xc2ce8ed0
	s_mov_b32 s17, 0x42b17218
	v_mov_b32_e32 v5, 0x7f800000
	v_mov_b32_e32 v11, v0
.LBB0_6:                                ; =>This Inner Loop Header: Depth=1
	ds_read_b32 v12, v4
	v_add_u32_e32 v11, 32, v11
	v_cmp_le_i32_e64 s[0:1], s8, v11
	s_or_b64 s[14:15], s[0:1], s[14:15]
	v_add_u32_e32 v4, 0x80, v4
	s_waitcnt lgkmcnt(0)
	v_sub_f32_e32 v12, v12, v10
	v_mul_f32_e32 v13, 0x3fb8aa3b, v12
	v_fma_f32 v14, v12, s11, -v13
	v_rndne_f32_e32 v15, v13
	v_fmac_f32_e32 v14, 0x32a5705f, v12
	v_sub_f32_e32 v13, v13, v15
	v_add_f32_e32 v13, v13, v14
	v_cvt_i32_f32_e32 v15, v15
	v_exp_f32_e32 v13, v13
	v_cmp_ngt_f32_e64 s[0:1], s16, v12
	v_ldexp_f32 v13, v13, v15
	s_nop 0
	v_cndmask_b32_e64 v13, 0, v13, s[0:1]
	v_cmp_nlt_f32_e64 s[0:1], s17, v12
	s_nop 1
	v_cndmask_b32_e64 v12, v5, v13, s[0:1]
	v_add_f32_e32 v3, v3, v12
	s_andn2_b64 exec, exec, s[14:15]
	s_cbranch_execnz .LBB0_6
; %bb.7:
	s_or_b64 exec, exec, s[14:15]
.LBB0_8:
	s_or_b64 exec, exec, s[12:13]
	ds_bpermute_b32 v4, v1, v3
	s_waitcnt lgkmcnt(0)
	v_add_f32_e32 v3, v3, v4
	ds_bpermute_b32 v4, v6, v3
	s_waitcnt lgkmcnt(0)
	v_add_f32_e32 v3, v3, v4
	;; [unrolled: 3-line block ×4, first 2 shown]
	ds_bpermute_b32 v5, v9, v4
	v_mov_b32_e32 v3, 0
	s_and_saveexec_b64 s[12:13], vcc
	s_cbranch_execz .LBB0_12
; %bb.9:
	s_waitcnt lgkmcnt(0)
	v_add_f32_e32 v3, v4, v5
	s_mov_b32 s0, 0x800000
	v_cmp_gt_f32_e32 vcc, s0, v3
	s_mov_b32 s0, 0x3f317217
	s_add_i32 s11, s19, s18
	v_cndmask_b32_e64 v4, 0, 32, vcc
	v_ldexp_f32 v3, v3, v4
	v_log_f32_e32 v3, v3
	v_mov_b32_e32 v5, 0x41b17218
	v_cndmask_b32_e32 v5, 0, v5, vcc
	v_mov_b32_e32 v12, v0
	v_mul_f32_e32 v4, 0x3f317217, v3
	v_fma_f32 v4, v3, s0, -v4
	v_fmamk_f32 v4, v3, 0x3377d1cf, v4
	s_mov_b32 s0, 0x7f800000
	v_fmac_f32_e32 v4, 0x3f317217, v3
	v_cmp_lt_f32_e64 s[0:1], |v3|, s0
	s_nop 1
	v_cndmask_b32_e64 v4, v3, v4, s[0:1]
	s_lshl_b64 s[0:1], s[10:11], 2
	s_add_u32 s0, s4, s0
	v_mov_b32_e32 v3, 0
	s_addc_u32 s1, s5, s1
	v_sub_f32_e32 v11, v4, v5
	v_lshl_add_u64 v[4:5], s[0:1], 0, v[2:3]
	v_add_u32_e32 v2, 0, v2
	s_mov_b64 s[0:1], 0
	s_mov_b64 s[4:5], 0x80
.LBB0_10:                               ; =>This Inner Loop Header: Depth=1
	global_load_dword v13, v[4:5], off
	ds_read_b32 v14, v2
	v_add_u32_e32 v12, 32, v12
	v_cmp_le_i32_e32 vcc, s8, v12
	v_lshl_add_u64 v[4:5], v[4:5], 0, s[4:5]
	v_add_u32_e32 v2, 0x80, v2
	s_waitcnt lgkmcnt(0)
	v_sub_f32_e32 v14, v14, v10
	v_sub_f32_e32 v14, v14, v11
	s_or_b64 s[0:1], vcc, s[0:1]
	s_waitcnt vmcnt(0)
	v_fmac_f32_e32 v3, v13, v14
	s_andn2_b64 exec, exec, s[0:1]
	s_cbranch_execnz .LBB0_10
; %bb.11:
	s_or_b64 exec, exec, s[0:1]
.LBB0_12:
	s_or_b64 exec, exec, s[12:13]
	ds_bpermute_b32 v1, v1, v3
	v_cmp_eq_u32_e32 vcc, 0, v0
	s_waitcnt lgkmcnt(0)
	v_add_f32_e32 v1, v3, v1
	ds_bpermute_b32 v2, v6, v1
	s_waitcnt lgkmcnt(0)
	v_add_f32_e32 v1, v1, v2
	ds_bpermute_b32 v2, v7, v1
	;; [unrolled: 3-line block ×4, first 2 shown]
	s_and_saveexec_b64 s[0:1], vcc
	s_cbranch_execz .LBB0_14
; %bb.13:
	v_cvt_f32_i32_e32 v0, s9
	s_waitcnt lgkmcnt(0)
	v_add_f32_e32 v1, v1, v2
	v_div_scale_f32 v2, s[0:1], v0, v0, -v1
	v_rcp_f32_e32 v3, v2
	v_div_scale_f32 v4, vcc, -v1, v0, -v1
	s_lshl_b64 s[0:1], s[2:3], 2
	v_fma_f32 v5, -v2, v3, 1.0
	v_fmac_f32_e32 v3, v5, v3
	v_mul_f32_e32 v5, v4, v3
	v_fma_f32 v6, -v2, v5, v4
	v_fmac_f32_e32 v5, v6, v3
	v_fma_f32 v2, -v2, v5, v4
	v_div_fmas_f32 v2, v2, v3, v5
	s_add_u32 s0, s6, s0
	v_div_fixup_f32 v0, v2, v0, -v1
	s_addc_u32 s1, s7, s1
	v_mov_b32_e32 v1, 0
	global_store_dword v1, v0, s[0:1]
.LBB0_14:
	s_endpgm
	.section	.rodata,"a",@progbits
	.p2align	6, 0x0
	.amdhsa_kernel _ZL22cross_entropy_loss_f32ILb1EEvPKfS1_Pfii
		.amdhsa_group_segment_fixed_size 0
		.amdhsa_private_segment_fixed_size 0
		.amdhsa_kernarg_size 32
		.amdhsa_user_sgpr_count 2
		.amdhsa_user_sgpr_dispatch_ptr 0
		.amdhsa_user_sgpr_queue_ptr 0
		.amdhsa_user_sgpr_kernarg_segment_ptr 1
		.amdhsa_user_sgpr_dispatch_id 0
		.amdhsa_user_sgpr_kernarg_preload_length 0
		.amdhsa_user_sgpr_kernarg_preload_offset 0
		.amdhsa_user_sgpr_private_segment_size 0
		.amdhsa_uses_dynamic_stack 0
		.amdhsa_enable_private_segment 0
		.amdhsa_system_sgpr_workgroup_id_x 1
		.amdhsa_system_sgpr_workgroup_id_y 0
		.amdhsa_system_sgpr_workgroup_id_z 0
		.amdhsa_system_sgpr_workgroup_info 0
		.amdhsa_system_vgpr_workitem_id 0
		.amdhsa_next_free_vgpr 16
		.amdhsa_next_free_sgpr 20
		.amdhsa_accum_offset 16
		.amdhsa_reserve_vcc 1
		.amdhsa_float_round_mode_32 0
		.amdhsa_float_round_mode_16_64 0
		.amdhsa_float_denorm_mode_32 3
		.amdhsa_float_denorm_mode_16_64 3
		.amdhsa_dx10_clamp 1
		.amdhsa_ieee_mode 1
		.amdhsa_fp16_overflow 0
		.amdhsa_tg_split 0
		.amdhsa_exception_fp_ieee_invalid_op 0
		.amdhsa_exception_fp_denorm_src 0
		.amdhsa_exception_fp_ieee_div_zero 0
		.amdhsa_exception_fp_ieee_overflow 0
		.amdhsa_exception_fp_ieee_underflow 0
		.amdhsa_exception_fp_ieee_inexact 0
		.amdhsa_exception_int_div_zero 0
	.end_amdhsa_kernel
	.section	.text._ZL22cross_entropy_loss_f32ILb1EEvPKfS1_Pfii,"axG",@progbits,_ZL22cross_entropy_loss_f32ILb1EEvPKfS1_Pfii,comdat
.Lfunc_end0:
	.size	_ZL22cross_entropy_loss_f32ILb1EEvPKfS1_Pfii, .Lfunc_end0-_ZL22cross_entropy_loss_f32ILb1EEvPKfS1_Pfii
                                        ; -- End function
	.set _ZL22cross_entropy_loss_f32ILb1EEvPKfS1_Pfii.num_vgpr, 16
	.set _ZL22cross_entropy_loss_f32ILb1EEvPKfS1_Pfii.num_agpr, 0
	.set _ZL22cross_entropy_loss_f32ILb1EEvPKfS1_Pfii.numbered_sgpr, 20
	.set _ZL22cross_entropy_loss_f32ILb1EEvPKfS1_Pfii.num_named_barrier, 0
	.set _ZL22cross_entropy_loss_f32ILb1EEvPKfS1_Pfii.private_seg_size, 0
	.set _ZL22cross_entropy_loss_f32ILb1EEvPKfS1_Pfii.uses_vcc, 1
	.set _ZL22cross_entropy_loss_f32ILb1EEvPKfS1_Pfii.uses_flat_scratch, 0
	.set _ZL22cross_entropy_loss_f32ILb1EEvPKfS1_Pfii.has_dyn_sized_stack, 0
	.set _ZL22cross_entropy_loss_f32ILb1EEvPKfS1_Pfii.has_recursion, 0
	.set _ZL22cross_entropy_loss_f32ILb1EEvPKfS1_Pfii.has_indirect_call, 0
	.section	.AMDGPU.csdata,"",@progbits
; Kernel info:
; codeLenInByte = 1212
; TotalNumSgprs: 26
; NumVgprs: 16
; NumAgprs: 0
; TotalNumVgprs: 16
; ScratchSize: 0
; MemoryBound: 0
; FloatMode: 240
; IeeeMode: 1
; LDSByteSize: 0 bytes/workgroup (compile time only)
; SGPRBlocks: 3
; VGPRBlocks: 1
; NumSGPRsForWavesPerEU: 26
; NumVGPRsForWavesPerEU: 16
; AccumOffset: 16
; Occupancy: 8
; WaveLimiterHint : 0
; COMPUTE_PGM_RSRC2:SCRATCH_EN: 0
; COMPUTE_PGM_RSRC2:USER_SGPR: 2
; COMPUTE_PGM_RSRC2:TRAP_HANDLER: 0
; COMPUTE_PGM_RSRC2:TGID_X_EN: 1
; COMPUTE_PGM_RSRC2:TGID_Y_EN: 0
; COMPUTE_PGM_RSRC2:TGID_Z_EN: 0
; COMPUTE_PGM_RSRC2:TIDIG_COMP_CNT: 0
; COMPUTE_PGM_RSRC3_GFX90A:ACCUM_OFFSET: 3
; COMPUTE_PGM_RSRC3_GFX90A:TG_SPLIT: 0
	.section	.text._ZL22cross_entropy_loss_f32ILb0EEvPKfS1_Pfii,"axG",@progbits,_ZL22cross_entropy_loss_f32ILb0EEvPKfS1_Pfii,comdat
	.globl	_ZL22cross_entropy_loss_f32ILb0EEvPKfS1_Pfii ; -- Begin function _ZL22cross_entropy_loss_f32ILb0EEvPKfS1_Pfii
	.p2align	8
	.type	_ZL22cross_entropy_loss_f32ILb0EEvPKfS1_Pfii,@function
_ZL22cross_entropy_loss_f32ILb0EEvPKfS1_Pfii: ; @_ZL22cross_entropy_loss_f32ILb0EEvPKfS1_Pfii
; %bb.0:
	s_load_dwordx2 s[8:9], s[0:1], 0x18
	s_load_dwordx2 s[10:11], s[0:1], 0x0
	v_mov_b32_e32 v8, 0xff800000
	s_waitcnt lgkmcnt(0)
	s_ashr_i32 s3, s8, 31
	s_mul_hi_u32 s4, s8, s2
	s_mul_i32 s3, s3, s2
	s_add_i32 s13, s4, s3
	s_mul_i32 s12, s8, s2
	v_cmp_gt_i32_e32 vcc, s8, v0
	s_and_saveexec_b64 s[14:15], vcc
	s_cbranch_execz .LBB1_10
; %bb.1:
	v_xad_u32 v1, v0, -1, s8
	v_cmp_lt_u32_e64 s[4:5], 31, v1
	s_mov_b64 s[18:19], -1
	v_mov_b32_e32 v8, 0xff800000
	v_mov_b32_e32 v2, v0
	s_and_saveexec_b64 s[16:17], s[4:5]
	s_cbranch_execz .LBB1_5
; %bb.2:
	v_lshrrev_b32_e32 v1, 5, v1
	s_lshl_b64 s[4:5], s[12:13], 2
	v_add_u32_e32 v6, 1, v1
	s_add_u32 s18, s10, s4
	v_add_u32_e32 v1, 32, v0
	s_mov_b32 s3, 2
	s_addc_u32 s19, s11, s5
	v_and_b32_e32 v7, 0xffffffe, v6
	v_mov_b32_e32 v8, 0xff800000
	s_mov_b64 s[22:23], 0
	v_mov_b32_e32 v3, 0
	v_mov_b64_e32 v[4:5], v[0:1]
	v_mov_b32_e32 v9, 0xff800000
                                        ; implicit-def: $sgpr20_sgpr21
.LBB1_3:                                ; =>This Inner Loop Header: Depth=1
	v_mov_b32_e32 v2, v4
	v_lshl_add_u64 v[10:11], v[2:3], 2, s[18:19]
	v_mov_b32_e32 v2, v5
	global_load_dword v12, v[10:11], off
	v_lshl_add_u64 v[10:11], v[2:3], 2, s[18:19]
	global_load_dword v11, v[10:11], off
	v_cmp_eq_u32_e64 s[4:5], s3, v7
	s_add_i32 s3, s3, 2
	v_mov_b32_e32 v1, v8
	v_mov_b32_e32 v2, v9
	v_max_f32_e32 v9, v2, v2
	v_max_f32_e32 v8, v1, v1
	v_add_u32_e32 v4, 64, v4
	v_add_u32_e32 v5, 64, v5
	v_mov_b32_e32 v10, s3
	s_waitcnt vmcnt(1)
	v_cmp_u_f32_e64 s[6:7], v12, v12
	v_max_f32_e32 v13, v12, v12
	s_nop 0
	v_cndmask_b32_e64 v12, 0, 1, s[6:7]
	s_waitcnt vmcnt(0)
	v_cmp_u_f32_e64 s[6:7], v11, v11
	v_max_f32_e32 v14, v11, v11
	v_max_f32_e32 v8, v8, v13
	v_cndmask_b32_e64 v11, 0, 1, s[6:7]
	v_lshlrev_b16_e32 v11, 1, v11
	v_bitop3_b16 v11, v12, 3, v11 bitop3:0xc8
	v_cmp_ne_u16_e64 s[6:7], 0, v11
	s_or_b64 s[4:5], s[6:7], s[4:5]
	s_and_b64 s[4:5], exec, s[4:5]
	s_or_b64 s[22:23], s[4:5], s[22:23]
	s_andn2_b64 s[4:5], s[20:21], exec
	s_and_b64 s[6:7], s[6:7], exec
	v_max_f32_e32 v9, v9, v14
	s_or_b64 s[20:21], s[4:5], s[6:7]
	s_andn2_b64 exec, exec, s[22:23]
	s_cbranch_execnz .LBB1_3
; %bb.4:
	s_or_b64 exec, exec, s[22:23]
	v_add_u32_e32 v3, -4, v10
	v_cndmask_b32_e64 v1, v8, v1, s[20:21]
	v_cndmask_b32_e64 v2, v9, v2, s[20:21]
	v_cmp_ne_u32_e64 s[4:5], v6, v7
	v_cndmask_b32_e64 v3, v7, v3, s[20:21]
	v_max_f32_e32 v2, v2, v2
	v_max_f32_e32 v1, v1, v1
	s_or_b64 s[4:5], s[4:5], s[20:21]
	v_max_f32_e32 v8, v1, v2
	v_lshl_add_u32 v2, v3, 5, v0
	s_orn2_b64 s[18:19], s[4:5], exec
.LBB1_5:
	s_or_b64 exec, exec, s[16:17]
	s_and_saveexec_b64 s[6:7], s[18:19]
	s_cbranch_execz .LBB1_9
; %bb.6:
	s_lshl_b64 s[4:5], s[12:13], 2
	s_add_u32 s4, s10, s4
	v_mov_b32_e32 v3, 0
	s_addc_u32 s5, s11, s5
	v_lshl_add_u64 v[4:5], v[2:3], 2, s[4:5]
	s_mov_b64 s[16:17], 0
	s_mov_b64 s[18:19], 0x80
.LBB1_7:                                ; =>This Inner Loop Header: Depth=1
	global_load_dword v1, v[4:5], off
	v_add_u32_e32 v2, 32, v2
	v_max_f32_e32 v3, v8, v8
	v_cmp_le_i32_e64 s[4:5], s8, v2
	v_lshl_add_u64 v[4:5], v[4:5], 0, s[18:19]
	s_or_b64 s[16:17], s[4:5], s[16:17]
	s_waitcnt vmcnt(0)
	v_max_f32_e32 v1, v1, v1
	v_max_f32_e32 v8, v3, v1
	s_andn2_b64 exec, exec, s[16:17]
	s_cbranch_execnz .LBB1_7
; %bb.8:
	s_or_b64 exec, exec, s[16:17]
.LBB1_9:
	s_or_b64 exec, exec, s[6:7]
.LBB1_10:
	s_or_b64 exec, exec, s[14:15]
	v_mbcnt_lo_u32_b32 v1, -1, 0
	v_mbcnt_hi_u32_b32 v2, -1, v1
	v_and_b32_e32 v1, 0x60, v2
	v_add_u32_e32 v3, 32, v1
	v_xor_b32_e32 v1, 16, v2
	v_cmp_lt_i32_e64 s[4:5], v1, v3
	v_xor_b32_e32 v6, 8, v2
	v_max_f32_e32 v5, v8, v8
	v_cndmask_b32_e64 v1, v2, v1, s[4:5]
	v_lshlrev_b32_e32 v1, 2, v1
	ds_bpermute_b32 v4, v1, v8
	v_cmp_lt_i32_e64 s[4:5], v6, v3
	s_load_dwordx2 s[6:7], s[0:1], 0x10
	s_mov_b32 s3, 0
	s_waitcnt lgkmcnt(0)
	v_max_f32_e32 v4, v4, v4
	v_max_f32_e32 v4, v5, v4
	v_cndmask_b32_e64 v5, v2, v6, s[4:5]
	v_lshlrev_b32_e32 v8, 2, v5
	ds_bpermute_b32 v5, v8, v4
	v_xor_b32_e32 v6, 4, v2
	v_cmp_lt_i32_e64 s[4:5], v6, v3
	s_waitcnt lgkmcnt(0)
	v_max_f32_e32 v5, v5, v5
	v_max_f32_e32 v4, v4, v5
	v_cndmask_b32_e64 v5, v2, v6, s[4:5]
	v_lshlrev_b32_e32 v9, 2, v5
	ds_bpermute_b32 v5, v9, v4
	v_xor_b32_e32 v6, 2, v2
	v_cmp_lt_i32_e64 s[4:5], v6, v3
	;; [unrolled: 8-line block ×3, first 2 shown]
	v_mov_b32_e32 v3, 0
	s_waitcnt lgkmcnt(0)
	v_max_f32_e32 v5, v5, v5
	v_cndmask_b32_e64 v2, v2, v6, s[4:5]
	v_max_f32_e32 v4, v4, v5
	v_lshlrev_b32_e32 v11, 2, v2
	ds_bpermute_b32 v2, v11, v4
	s_waitcnt lgkmcnt(0)
	v_max_f32_e32 v2, v2, v2
	v_max_f32_e32 v12, v4, v2
	v_lshlrev_b32_e32 v2, 2, v0
	s_and_saveexec_b64 s[14:15], vcc
	s_cbranch_execz .LBB1_14
; %bb.11:
	s_lshl_b64 s[4:5], s[12:13], 2
	s_add_u32 s4, s10, s4
	v_mov_b32_e32 v3, 0
	s_addc_u32 s5, s11, s5
	v_lshl_add_u64 v[4:5], s[4:5], 0, v[2:3]
	s_mov_b64 s[16:17], 0
	s_mov_b32 s20, 0x3fb8aa3b
	s_mov_b32 s21, 0xc2ce8ed0
	;; [unrolled: 1-line block ×3, first 2 shown]
	v_mov_b32_e32 v6, 0x7f800000
	s_mov_b64 s[18:19], 0x80
	v_mov_b32_e32 v7, v0
.LBB1_12:                               ; =>This Inner Loop Header: Depth=1
	global_load_dword v13, v[4:5], off
	v_add_u32_e32 v7, 32, v7
	v_cmp_le_i32_e64 s[4:5], s8, v7
	s_or_b64 s[16:17], s[4:5], s[16:17]
	v_lshl_add_u64 v[4:5], v[4:5], 0, s[18:19]
	s_waitcnt vmcnt(0)
	v_sub_f32_e32 v13, v13, v12
	v_mul_f32_e32 v14, 0x3fb8aa3b, v13
	v_fma_f32 v15, v13, s20, -v14
	v_rndne_f32_e32 v16, v14
	v_fmac_f32_e32 v15, 0x32a5705f, v13
	v_sub_f32_e32 v14, v14, v16
	v_add_f32_e32 v14, v14, v15
	v_cvt_i32_f32_e32 v16, v16
	v_exp_f32_e32 v14, v14
	v_cmp_ngt_f32_e64 s[4:5], s21, v13
	v_ldexp_f32 v14, v14, v16
	s_nop 0
	v_cndmask_b32_e64 v14, 0, v14, s[4:5]
	v_cmp_nlt_f32_e64 s[4:5], s22, v13
	s_nop 1
	v_cndmask_b32_e64 v13, v6, v14, s[4:5]
	v_add_f32_e32 v3, v3, v13
	s_andn2_b64 exec, exec, s[16:17]
	s_cbranch_execnz .LBB1_12
; %bb.13:
	s_or_b64 exec, exec, s[16:17]
.LBB1_14:
	s_or_b64 exec, exec, s[14:15]
	ds_bpermute_b32 v4, v1, v3
	s_load_dwordx2 s[14:15], s[0:1], 0x8
	s_waitcnt lgkmcnt(0)
	v_add_f32_e32 v3, v3, v4
	ds_bpermute_b32 v4, v8, v3
	s_waitcnt lgkmcnt(0)
	v_add_f32_e32 v3, v3, v4
	ds_bpermute_b32 v4, v9, v3
	;; [unrolled: 3-line block ×4, first 2 shown]
	v_mov_b32_e32 v3, 0
	s_and_saveexec_b64 s[4:5], vcc
	s_cbranch_execz .LBB1_18
; %bb.15:
	s_waitcnt lgkmcnt(0)
	v_add_f32_e32 v3, v4, v5
	s_mov_b32 s0, 0x800000
	v_cmp_gt_f32_e32 vcc, s0, v3
	s_mov_b32 s0, 0x3f317217
	v_mov_b32_e32 v5, 0x41b17218
	v_cndmask_b32_e64 v4, 0, 32, vcc
	v_ldexp_f32 v3, v3, v4
	v_log_f32_e32 v3, v3
	v_cndmask_b32_e32 v5, 0, v5, vcc
	v_mul_f32_e32 v4, 0x3f317217, v3
	v_fma_f32 v4, v3, s0, -v4
	v_fmamk_f32 v4, v3, 0x3377d1cf, v4
	s_mov_b32 s0, 0x7f800000
	v_fmac_f32_e32 v4, 0x3f317217, v3
	v_cmp_lt_f32_e64 s[0:1], |v3|, s0
	s_nop 1
	v_cndmask_b32_e64 v4, v3, v4, s[0:1]
	v_mov_b32_e32 v3, 0
	v_lshl_add_u64 v[6:7], s[12:13], 2, v[2:3]
	v_sub_f32_e32 v13, v4, v5
	v_lshl_add_u64 v[4:5], s[10:11], 0, v[6:7]
	v_lshl_add_u64 v[6:7], s[14:15], 0, v[6:7]
	s_mov_b64 s[0:1], 0
	s_mov_b64 s[10:11], 0x80
	v_mov_b32_e32 v2, v0
.LBB1_16:                               ; =>This Inner Loop Header: Depth=1
	global_load_dword v14, v[4:5], off
	global_load_dword v15, v[6:7], off
	v_add_u32_e32 v2, 32, v2
	v_cmp_le_i32_e32 vcc, s8, v2
	v_lshl_add_u64 v[4:5], v[4:5], 0, s[10:11]
	v_lshl_add_u64 v[6:7], v[6:7], 0, s[10:11]
	s_or_b64 s[0:1], vcc, s[0:1]
	s_waitcnt vmcnt(1)
	v_sub_f32_e32 v14, v14, v12
	v_sub_f32_e32 v14, v14, v13
	s_waitcnt vmcnt(0)
	v_fmac_f32_e32 v3, v15, v14
	s_andn2_b64 exec, exec, s[0:1]
	s_cbranch_execnz .LBB1_16
; %bb.17:
	s_or_b64 exec, exec, s[0:1]
.LBB1_18:
	s_or_b64 exec, exec, s[4:5]
	ds_bpermute_b32 v1, v1, v3
	v_cmp_eq_u32_e32 vcc, 0, v0
	s_waitcnt lgkmcnt(0)
	v_add_f32_e32 v1, v3, v1
	ds_bpermute_b32 v2, v8, v1
	s_waitcnt lgkmcnt(0)
	v_add_f32_e32 v1, v1, v2
	ds_bpermute_b32 v2, v9, v1
	;; [unrolled: 3-line block ×4, first 2 shown]
	s_and_saveexec_b64 s[0:1], vcc
	s_cbranch_execz .LBB1_20
; %bb.19:
	v_cvt_f32_i32_e32 v0, s9
	s_waitcnt lgkmcnt(0)
	v_add_f32_e32 v1, v1, v2
	v_div_scale_f32 v2, s[0:1], v0, v0, -v1
	v_rcp_f32_e32 v3, v2
	v_div_scale_f32 v4, vcc, -v1, v0, -v1
	s_lshl_b64 s[0:1], s[2:3], 2
	v_fma_f32 v5, -v2, v3, 1.0
	v_fmac_f32_e32 v3, v5, v3
	v_mul_f32_e32 v5, v4, v3
	v_fma_f32 v6, -v2, v5, v4
	v_fmac_f32_e32 v5, v6, v3
	v_fma_f32 v2, -v2, v5, v4
	v_div_fmas_f32 v2, v2, v3, v5
	s_add_u32 s0, s6, s0
	v_div_fixup_f32 v0, v2, v0, -v1
	s_addc_u32 s1, s7, s1
	v_mov_b32_e32 v1, 0
	global_store_dword v1, v0, s[0:1]
.LBB1_20:
	s_endpgm
	.section	.rodata,"a",@progbits
	.p2align	6, 0x0
	.amdhsa_kernel _ZL22cross_entropy_loss_f32ILb0EEvPKfS1_Pfii
		.amdhsa_group_segment_fixed_size 0
		.amdhsa_private_segment_fixed_size 0
		.amdhsa_kernarg_size 32
		.amdhsa_user_sgpr_count 2
		.amdhsa_user_sgpr_dispatch_ptr 0
		.amdhsa_user_sgpr_queue_ptr 0
		.amdhsa_user_sgpr_kernarg_segment_ptr 1
		.amdhsa_user_sgpr_dispatch_id 0
		.amdhsa_user_sgpr_kernarg_preload_length 0
		.amdhsa_user_sgpr_kernarg_preload_offset 0
		.amdhsa_user_sgpr_private_segment_size 0
		.amdhsa_uses_dynamic_stack 0
		.amdhsa_enable_private_segment 0
		.amdhsa_system_sgpr_workgroup_id_x 1
		.amdhsa_system_sgpr_workgroup_id_y 0
		.amdhsa_system_sgpr_workgroup_id_z 0
		.amdhsa_system_sgpr_workgroup_info 0
		.amdhsa_system_vgpr_workitem_id 0
		.amdhsa_next_free_vgpr 17
		.amdhsa_next_free_sgpr 24
		.amdhsa_accum_offset 20
		.amdhsa_reserve_vcc 1
		.amdhsa_float_round_mode_32 0
		.amdhsa_float_round_mode_16_64 0
		.amdhsa_float_denorm_mode_32 3
		.amdhsa_float_denorm_mode_16_64 3
		.amdhsa_dx10_clamp 1
		.amdhsa_ieee_mode 1
		.amdhsa_fp16_overflow 0
		.amdhsa_tg_split 0
		.amdhsa_exception_fp_ieee_invalid_op 0
		.amdhsa_exception_fp_denorm_src 0
		.amdhsa_exception_fp_ieee_div_zero 0
		.amdhsa_exception_fp_ieee_overflow 0
		.amdhsa_exception_fp_ieee_underflow 0
		.amdhsa_exception_fp_ieee_inexact 0
		.amdhsa_exception_int_div_zero 0
	.end_amdhsa_kernel
	.section	.text._ZL22cross_entropy_loss_f32ILb0EEvPKfS1_Pfii,"axG",@progbits,_ZL22cross_entropy_loss_f32ILb0EEvPKfS1_Pfii,comdat
.Lfunc_end1:
	.size	_ZL22cross_entropy_loss_f32ILb0EEvPKfS1_Pfii, .Lfunc_end1-_ZL22cross_entropy_loss_f32ILb0EEvPKfS1_Pfii
                                        ; -- End function
	.set _ZL22cross_entropy_loss_f32ILb0EEvPKfS1_Pfii.num_vgpr, 17
	.set _ZL22cross_entropy_loss_f32ILb0EEvPKfS1_Pfii.num_agpr, 0
	.set _ZL22cross_entropy_loss_f32ILb0EEvPKfS1_Pfii.numbered_sgpr, 24
	.set _ZL22cross_entropy_loss_f32ILb0EEvPKfS1_Pfii.num_named_barrier, 0
	.set _ZL22cross_entropy_loss_f32ILb0EEvPKfS1_Pfii.private_seg_size, 0
	.set _ZL22cross_entropy_loss_f32ILb0EEvPKfS1_Pfii.uses_vcc, 1
	.set _ZL22cross_entropy_loss_f32ILb0EEvPKfS1_Pfii.uses_flat_scratch, 0
	.set _ZL22cross_entropy_loss_f32ILb0EEvPKfS1_Pfii.has_dyn_sized_stack, 0
	.set _ZL22cross_entropy_loss_f32ILb0EEvPKfS1_Pfii.has_recursion, 0
	.set _ZL22cross_entropy_loss_f32ILb0EEvPKfS1_Pfii.has_indirect_call, 0
	.section	.AMDGPU.csdata,"",@progbits
; Kernel info:
; codeLenInByte = 1580
; TotalNumSgprs: 30
; NumVgprs: 17
; NumAgprs: 0
; TotalNumVgprs: 17
; ScratchSize: 0
; MemoryBound: 0
; FloatMode: 240
; IeeeMode: 1
; LDSByteSize: 0 bytes/workgroup (compile time only)
; SGPRBlocks: 3
; VGPRBlocks: 2
; NumSGPRsForWavesPerEU: 30
; NumVGPRsForWavesPerEU: 17
; AccumOffset: 20
; Occupancy: 8
; WaveLimiterHint : 0
; COMPUTE_PGM_RSRC2:SCRATCH_EN: 0
; COMPUTE_PGM_RSRC2:USER_SGPR: 2
; COMPUTE_PGM_RSRC2:TRAP_HANDLER: 0
; COMPUTE_PGM_RSRC2:TGID_X_EN: 1
; COMPUTE_PGM_RSRC2:TGID_Y_EN: 0
; COMPUTE_PGM_RSRC2:TGID_Z_EN: 0
; COMPUTE_PGM_RSRC2:TIDIG_COMP_CNT: 0
; COMPUTE_PGM_RSRC3_GFX90A:ACCUM_OFFSET: 4
; COMPUTE_PGM_RSRC3_GFX90A:TG_SPLIT: 0
	.section	.text._ZL27cross_entropy_loss_back_f32ILb1EEvPKfS1_S1_Pfi,"axG",@progbits,_ZL27cross_entropy_loss_back_f32ILb1EEvPKfS1_S1_Pfi,comdat
	.globl	_ZL27cross_entropy_loss_back_f32ILb1EEvPKfS1_S1_Pfi ; -- Begin function _ZL27cross_entropy_loss_back_f32ILb1EEvPKfS1_S1_Pfi
	.p2align	8
	.type	_ZL27cross_entropy_loss_back_f32ILb1EEvPKfS1_S1_Pfi,@function
_ZL27cross_entropy_loss_back_f32ILb1EEvPKfS1_S1_Pfi: ; @_ZL27cross_entropy_loss_back_f32ILb1EEvPKfS1_S1_Pfi
; %bb.0:
	s_load_dword s18, s[0:1], 0x20
	s_load_dwordx2 s[10:11], s[0:1], 0x0
	s_load_dwordx4 s[4:7], s[0:1], 0x10
	v_mov_b32_e32 v4, 0xff800000
	s_waitcnt lgkmcnt(0)
	s_ashr_i32 s3, s18, 31
	s_mul_hi_u32 s8, s18, s2
	s_mul_i32 s3, s3, s2
	s_add_i32 s9, s8, s3
	s_mul_i32 s8, s18, s2
	v_cmp_gt_i32_e32 vcc, s18, v0
	s_and_saveexec_b64 s[12:13], vcc
	s_cbranch_execz .LBB2_4
; %bb.1:
	s_load_dwordx2 s[2:3], s[0:1], 0x8
	s_lshl_b64 s[14:15], s[8:9], 2
	v_lshlrev_b32_e32 v2, 2, v0
	v_mov_b32_e32 v3, 0
	v_add_u32_e32 v1, 0, v2
	s_waitcnt lgkmcnt(0)
	s_add_u32 s2, s2, s14
	s_addc_u32 s3, s3, s15
	v_lshl_add_u64 v[2:3], s[2:3], 0, v[2:3]
	v_mov_b32_e32 v4, 0xff800000
	s_mov_b64 s[14:15], 0
	s_mov_b64 s[16:17], 0x80
	v_mov_b32_e32 v5, v0
.LBB2_2:                                ; =>This Inner Loop Header: Depth=1
	global_load_dword v6, v[2:3], off
	v_add_u32_e32 v5, 32, v5
	v_max_f32_e32 v4, v4, v4
	v_cmp_le_i32_e64 s[2:3], s18, v5
	v_lshl_add_u64 v[2:3], v[2:3], 0, s[16:17]
	s_or_b64 s[14:15], s[2:3], s[14:15]
	s_waitcnt vmcnt(0)
	v_max_f32_e32 v7, v6, v6
	ds_write_b32 v1, v6
	v_add_u32_e32 v1, 0x80, v1
	v_max_f32_e32 v4, v4, v7
	s_andn2_b64 exec, exec, s[14:15]
	s_cbranch_execnz .LBB2_2
; %bb.3:
	s_or_b64 exec, exec, s[14:15]
.LBB2_4:
	s_or_b64 exec, exec, s[12:13]
	v_mbcnt_lo_u32_b32 v1, -1, 0
	v_mbcnt_hi_u32_b32 v5, -1, v1
	v_and_b32_e32 v1, 0x60, v5
	v_add_u32_e32 v6, 32, v1
	v_xor_b32_e32 v1, 16, v5
	v_cmp_lt_i32_e64 s[2:3], v1, v6
	v_max_f32_e32 v3, v4, v4
	v_xor_b32_e32 v7, 4, v5
	v_cndmask_b32_e64 v1, v5, v1, s[2:3]
	v_lshlrev_b32_e32 v1, 2, v1
	ds_bpermute_b32 v2, v1, v4
	v_xor_b32_e32 v4, 8, v5
	v_cmp_lt_i32_e64 s[2:3], v4, v6
	v_xor_b32_e32 v8, 2, v5
	v_xor_b32_e32 v9, 1, v5
	s_waitcnt lgkmcnt(0)
	v_max_f32_e32 v2, v2, v2
	v_max_f32_e32 v3, v3, v2
	v_cndmask_b32_e64 v2, v5, v4, s[2:3]
	v_lshlrev_b32_e32 v2, 2, v2
	ds_bpermute_b32 v4, v2, v3
	v_cmp_lt_i32_e64 s[2:3], v7, v6
	s_waitcnt lgkmcnt(0)
	v_max_f32_e32 v4, v4, v4
	v_max_f32_e32 v4, v3, v4
	v_cndmask_b32_e64 v3, v5, v7, s[2:3]
	v_lshlrev_b32_e32 v3, 2, v3
	ds_bpermute_b32 v7, v3, v4
	v_cmp_lt_i32_e64 s[2:3], v8, v6
	;; [unrolled: 7-line block ×3, first 2 shown]
	v_mov_b32_e32 v6, 0
	s_waitcnt lgkmcnt(0)
	v_max_f32_e32 v8, v8, v8
	v_cndmask_b32_e64 v5, v5, v9, s[2:3]
	v_max_f32_e32 v7, v7, v8
	v_lshlrev_b32_e32 v5, 2, v5
	ds_bpermute_b32 v8, v5, v7
	s_and_saveexec_b64 s[12:13], vcc
	s_cbranch_execz .LBB2_8
; %bb.5:
	s_waitcnt lgkmcnt(0)
	v_max_f32_e32 v6, v8, v8
	v_max_f32_e32 v7, v7, v7
	;; [unrolled: 1-line block ×3, first 2 shown]
	v_lshl_add_u32 v8, v0, 2, 0
	v_mov_b32_e32 v6, 0
	s_mov_b64 s[14:15], 0
	s_mov_b32 s16, 0x3fb8aa3b
	s_mov_b32 s17, 0xc2ce8ed0
	;; [unrolled: 1-line block ×3, first 2 shown]
	v_mov_b32_e32 v9, 0x7f800000
	v_mov_b32_e32 v10, v0
.LBB2_6:                                ; =>This Inner Loop Header: Depth=1
	ds_read_b32 v11, v8
	v_add_u32_e32 v10, 32, v10
	s_waitcnt lgkmcnt(0)
	v_sub_f32_e32 v11, v11, v7
	v_mul_f32_e32 v12, 0x3fb8aa3b, v11
	v_fma_f32 v13, v11, s16, -v12
	v_rndne_f32_e32 v14, v12
	v_fmac_f32_e32 v13, 0x32a5705f, v11
	v_sub_f32_e32 v12, v12, v14
	v_add_f32_e32 v12, v12, v13
	v_cvt_i32_f32_e32 v14, v14
	v_exp_f32_e32 v12, v12
	v_cmp_ngt_f32_e64 s[2:3], s17, v11
	v_ldexp_f32 v12, v12, v14
	s_nop 0
	v_cndmask_b32_e64 v12, 0, v12, s[2:3]
	v_cmp_nlt_f32_e64 s[2:3], s19, v11
	s_nop 1
	v_cndmask_b32_e64 v11, v9, v12, s[2:3]
	v_cmp_le_i32_e64 s[2:3], s18, v10
	v_add_f32_e32 v6, v6, v11
	ds_write_b32 v8, v11
	s_or_b64 s[14:15], s[2:3], s[14:15]
	v_add_u32_e32 v8, 0x80, v8
	s_andn2_b64 exec, exec, s[14:15]
	s_cbranch_execnz .LBB2_6
; %bb.7:
	s_or_b64 exec, exec, s[14:15]
.LBB2_8:
	s_or_b64 exec, exec, s[12:13]
	ds_bpermute_b32 v1, v1, v6
	s_waitcnt lgkmcnt(0)
	v_add_f32_e32 v1, v6, v1
	ds_bpermute_b32 v2, v2, v1
	s_waitcnt lgkmcnt(0)
	v_add_f32_e32 v1, v1, v2
	;; [unrolled: 3-line block ×4, first 2 shown]
	ds_bpermute_b32 v2, v5, v1
	s_and_saveexec_b64 s[2:3], vcc
	s_cbranch_execz .LBB2_21
; %bb.9:
	s_waitcnt lgkmcnt(0)
	v_add_f32_e32 v1, v1, v2
	v_div_scale_f32 v2, s[2:3], v1, v1, 1.0
	v_rcp_f32_e32 v3, v2
	s_load_dword s0, s[0:1], 0x28
	v_fma_f32 v4, -v2, v3, 1.0
	s_load_dword s2, s[10:11], 0x0
	v_fmac_f32_e32 v3, v4, v3
	v_div_scale_f32 v4, vcc, 1.0, v1, 1.0
	s_waitcnt lgkmcnt(0)
	v_cvt_f32_u32_e32 v7, s0
	v_mul_f32_e32 v5, v4, v3
	v_fma_f32 v6, -v2, v5, v4
	v_fmac_f32_e32 v5, v6, v3
	v_fma_f32 v2, -v2, v5, v4
	v_div_scale_f32 v4, s[0:1], v7, v7, s2
	v_rcp_f32_e32 v6, v4
	v_div_fmas_f32 v2, v2, v3, v5
	v_div_fixup_f32 v2, v2, v1, 1.0
	v_fma_f32 v1, -v4, v6, 1.0
	v_fmac_f32_e32 v6, v1, v6
	v_div_scale_f32 v1, vcc, s2, v7, s2
	v_mul_f32_e32 v3, v1, v6
	v_fma_f32 v5, -v4, v3, v1
	v_fmac_f32_e32 v3, v5, v6
	v_fma_f32 v1, -v4, v3, v1
	v_div_fmas_f32 v1, v1, v6, v3
	v_div_fixup_f32 v4, v1, v7, s2
	v_xad_u32 v1, v0, -1, s18
	v_cmp_lt_u32_e32 vcc, 31, v1
	s_mov_b64 s[2:3], -1
	s_and_saveexec_b64 s[0:1], vcc
	s_cbranch_execz .LBB2_18
; %bb.10:
	s_lshl_b64 s[10:11], s[8:9], 2
	v_lshrrev_b32_e32 v10, 5, v1
	s_add_u32 s2, s4, s10
	s_addc_u32 s3, s5, s11
	v_add_u32_e32 v6, -1, v10
	s_add_u32 s10, s6, s10
	v_add_u32_e32 v1, 32, v0
	v_lshrrev_b32_e32 v7, 1, v6
	s_addc_u32 s11, s7, s11
	v_mov_b32_e32 v3, v2
	v_mov_b32_e32 v5, v4
	v_add_u32_e32 v11, 1, v7
	v_cmp_lt_u32_e32 vcc, 5, v6
	v_mov_b32_e32 v8, 0
	v_mov_b64_e32 v[6:7], v[0:1]
	s_and_saveexec_b64 s[12:13], vcc
	s_cbranch_execz .LBB2_14
; %bb.11:
	v_and_b32_e32 v12, -4, v11
	s_mov_b32 s16, 0
	v_lshl_add_u32 v13, v0, 2, 0
	s_mov_b64 s[14:15], 0
	v_mov_b32_e32 v9, 0
	v_mov_b64_e32 v[6:7], v[0:1]
.LBB2_12:                               ; =>This Inner Loop Header: Depth=1
	v_mov_b32_e32 v8, v6
	v_lshlrev_b64 v[20:21], 2, v[8:9]
	v_mov_b32_e32 v8, v7
	v_add_u32_e32 v14, 64, v7
	v_mov_b32_e32 v15, v9
	v_lshlrev_b64 v[24:25], 2, v[8:9]
	v_add_u32_e32 v8, 64, v6
	v_lshlrev_b64 v[14:15], 2, v[14:15]
	v_lshl_add_u64 v[22:23], s[2:3], 0, v[20:21]
	v_lshlrev_b64 v[34:35], 2, v[8:9]
	v_add_u32_e32 v8, 0x80, v6
	v_add_u32_e32 v16, 0x80, v7
	v_mov_b32_e32 v17, v9
	v_lshl_add_u64 v[26:27], s[2:3], 0, v[14:15]
	v_lshl_add_u64 v[32:33], s[2:3], 0, v[24:25]
	global_load_dword v22, v[22:23], off
	v_lshlrev_b64 v[38:39], 2, v[8:9]
	v_add_u32_e32 v8, 0xc0, v6
	v_add_u32_e32 v18, 0xc0, v7
	v_mov_b32_e32 v19, v9
	v_lshlrev_b64 v[16:17], 2, v[16:17]
	v_lshl_add_u64 v[36:37], s[2:3], 0, v[34:35]
	global_load_dword v23, v[32:33], off
	global_load_dword v40, v[36:37], off
	;; [unrolled: 1-line block ×3, first 2 shown]
	v_lshl_add_u64 v[26:27], s[2:3], 0, v[38:39]
	v_lshlrev_b64 v[32:33], 2, v[8:9]
	v_lshlrev_b64 v[18:19], 2, v[18:19]
	v_lshl_add_u64 v[28:29], s[2:3], 0, v[16:17]
	global_load_dword v36, v[26:27], off
	global_load_dword v37, v[28:29], off
	v_lshl_add_u64 v[26:27], s[2:3], 0, v[32:33]
	v_lshl_add_u64 v[30:31], s[2:3], 0, v[18:19]
	global_load_dword v28, v[26:27], off
	global_load_dword v29, v[30:31], off
	ds_read2_b32 v[26:27], v13 offset1:32
	ds_read2_b32 v[30:31], v13 offset0:64 offset1:96
	ds_read2_b32 v[42:43], v13 offset0:128 offset1:160
	ds_read2_b32 v[44:45], v13 offset0:192 offset1:224
	v_lshl_add_u64 v[20:21], s[10:11], 0, v[20:21]
	v_add_u32_e32 v12, -4, v12
	v_lshl_add_u64 v[14:15], s[10:11], 0, v[14:15]
	v_lshl_add_u64 v[24:25], s[10:11], 0, v[24:25]
	;; [unrolled: 1-line block ×3, first 2 shown]
	s_add_i32 s16, s16, 8
	v_cmp_eq_u32_e32 vcc, 0, v12
	v_lshl_add_u64 v[38:39], s[10:11], 0, v[38:39]
	v_add_u32_e32 v13, 0x400, v13
	v_add_u32_e32 v7, 0x100, v7
	v_mov_b32_e32 v8, s16
	v_lshl_add_u64 v[16:17], s[10:11], 0, v[16:17]
	s_or_b64 s[14:15], vcc, s[14:15]
	v_add_u32_e32 v6, 0x100, v6
	v_lshl_add_u64 v[32:33], s[10:11], 0, v[32:33]
	v_lshl_add_u64 v[18:19], s[10:11], 0, v[18:19]
	s_waitcnt vmcnt(6) lgkmcnt(3)
	v_pk_fma_f32 v[22:23], v[2:3], v[26:27], v[22:23] neg_lo:[0,0,1] neg_hi:[0,0,1]
	s_nop 0
	v_pk_mul_f32 v[22:23], v[4:5], v[22:23]
	s_waitcnt vmcnt(4) lgkmcnt(2)
	v_pk_fma_f32 v[26:27], v[2:3], v[30:31], v[40:41] neg_lo:[0,0,1] neg_hi:[0,0,1]
	global_store_dword v[20:21], v22, off
	global_store_dword v[24:25], v23, off
	v_pk_mul_f32 v[20:21], v[4:5], v[26:27]
	global_store_dword v[34:35], v20, off
	global_store_dword v[14:15], v21, off
	s_waitcnt vmcnt(6) lgkmcnt(1)
	v_pk_fma_f32 v[22:23], v[2:3], v[42:43], v[36:37] neg_lo:[0,0,1] neg_hi:[0,0,1]
	s_nop 0
	v_pk_mul_f32 v[14:15], v[4:5], v[22:23]
	global_store_dword v[38:39], v14, off
	global_store_dword v[16:17], v15, off
	s_waitcnt vmcnt(6) lgkmcnt(0)
	v_pk_fma_f32 v[20:21], v[2:3], v[44:45], v[28:29] neg_lo:[0,0,1] neg_hi:[0,0,1]
	s_nop 0
	v_pk_mul_f32 v[14:15], v[4:5], v[20:21]
	global_store_dword v[32:33], v14, off
	global_store_dword v[18:19], v15, off
	s_andn2_b64 exec, exec, s[14:15]
	s_cbranch_execnz .LBB2_12
; %bb.13:
	s_or_b64 exec, exec, s[14:15]
.LBB2_14:
	s_or_b64 exec, exec, s[12:13]
	v_and_b32_e32 v1, 3, v11
	v_cmp_ne_u32_e32 vcc, 0, v1
	s_and_saveexec_b64 s[12:13], vcc
	s_cbranch_execz .LBB2_17
; %bb.15:
	v_lshlrev_b32_e32 v8, 7, v8
	v_lshlrev_b32_e32 v9, 2, v0
	v_add3_u32 v11, v8, v9, 0
	s_mov_b64 s[14:15], 0
	v_mov_b32_e32 v9, 0
.LBB2_16:                               ; =>This Inner Loop Header: Depth=1
	v_mov_b32_e32 v8, v6
	v_lshlrev_b64 v[12:13], 2, v[8:9]
	v_mov_b32_e32 v8, v7
	v_lshl_add_u64 v[14:15], s[2:3], 0, v[12:13]
	v_lshlrev_b64 v[16:17], 2, v[8:9]
	v_lshl_add_u64 v[18:19], s[2:3], 0, v[16:17]
	global_load_dword v20, v[14:15], off
	global_load_dword v21, v[18:19], off
	ds_read2_b32 v[14:15], v11 offset1:32
	v_add_u32_e32 v1, -1, v1
	v_cmp_eq_u32_e32 vcc, 0, v1
	v_add_u32_e32 v6, 64, v6
	v_add_u32_e32 v11, 0x100, v11
	;; [unrolled: 1-line block ×3, first 2 shown]
	v_lshl_add_u64 v[12:13], s[10:11], 0, v[12:13]
	s_or_b64 s[14:15], vcc, s[14:15]
	v_lshl_add_u64 v[16:17], s[10:11], 0, v[16:17]
	s_waitcnt vmcnt(0) lgkmcnt(0)
	v_pk_fma_f32 v[14:15], v[2:3], v[14:15], v[20:21] neg_lo:[0,0,1] neg_hi:[0,0,1]
	s_nop 0
	v_pk_mul_f32 v[14:15], v[4:5], v[14:15]
	global_store_dword v[12:13], v14, off
	global_store_dword v[16:17], v15, off
	s_andn2_b64 exec, exec, s[14:15]
	s_cbranch_execnz .LBB2_16
.LBB2_17:
	s_or_b64 exec, exec, s[12:13]
	v_add_u32_e32 v1, 1, v10
	v_and_b32_e32 v3, 0xffffffe, v1
	v_cmp_ne_u32_e32 vcc, v1, v3
	v_lshl_add_u32 v0, v3, 5, v0
	s_orn2_b64 s[2:3], vcc, exec
.LBB2_18:
	s_or_b64 exec, exec, s[0:1]
	s_and_b64 exec, exec, s[2:3]
	s_cbranch_execz .LBB2_21
; %bb.19:
	v_mov_b32_e32 v1, 0
	v_lshlrev_b64 v[6:7], 2, v[0:1]
	v_lshl_add_u64 v[8:9], s[8:9], 2, v[6:7]
	v_lshl_add_u64 v[6:7], s[4:5], 0, v[8:9]
	;; [unrolled: 1-line block ×3, first 2 shown]
	v_lshl_add_u32 v1, v0, 2, 0
	s_mov_b64 s[0:1], 0
	s_mov_b64 s[2:3], 0x80
.LBB2_20:                               ; =>This Inner Loop Header: Depth=1
	global_load_dword v3, v[6:7], off
	ds_read_b32 v5, v1
	v_add_u32_e32 v0, 32, v0
	v_cmp_le_i32_e32 vcc, s18, v0
	v_lshl_add_u64 v[6:7], v[6:7], 0, s[2:3]
	v_add_u32_e32 v1, 0x80, v1
	s_or_b64 s[0:1], vcc, s[0:1]
	s_waitcnt vmcnt(0) lgkmcnt(0)
	v_fma_f32 v3, v2, v5, -v3
	v_mul_f32_e32 v3, v4, v3
	global_store_dword v[8:9], v3, off
	v_lshl_add_u64 v[8:9], v[8:9], 0, s[2:3]
	s_andn2_b64 exec, exec, s[0:1]
	s_cbranch_execnz .LBB2_20
.LBB2_21:
	s_endpgm
	.section	.rodata,"a",@progbits
	.p2align	6, 0x0
	.amdhsa_kernel _ZL27cross_entropy_loss_back_f32ILb1EEvPKfS1_S1_Pfi
		.amdhsa_group_segment_fixed_size 0
		.amdhsa_private_segment_fixed_size 0
		.amdhsa_kernarg_size 296
		.amdhsa_user_sgpr_count 2
		.amdhsa_user_sgpr_dispatch_ptr 0
		.amdhsa_user_sgpr_queue_ptr 0
		.amdhsa_user_sgpr_kernarg_segment_ptr 1
		.amdhsa_user_sgpr_dispatch_id 0
		.amdhsa_user_sgpr_kernarg_preload_length 0
		.amdhsa_user_sgpr_kernarg_preload_offset 0
		.amdhsa_user_sgpr_private_segment_size 0
		.amdhsa_uses_dynamic_stack 0
		.amdhsa_enable_private_segment 0
		.amdhsa_system_sgpr_workgroup_id_x 1
		.amdhsa_system_sgpr_workgroup_id_y 0
		.amdhsa_system_sgpr_workgroup_id_z 0
		.amdhsa_system_sgpr_workgroup_info 0
		.amdhsa_system_vgpr_workitem_id 0
		.amdhsa_next_free_vgpr 46
		.amdhsa_next_free_sgpr 20
		.amdhsa_accum_offset 48
		.amdhsa_reserve_vcc 1
		.amdhsa_float_round_mode_32 0
		.amdhsa_float_round_mode_16_64 0
		.amdhsa_float_denorm_mode_32 3
		.amdhsa_float_denorm_mode_16_64 3
		.amdhsa_dx10_clamp 1
		.amdhsa_ieee_mode 1
		.amdhsa_fp16_overflow 0
		.amdhsa_tg_split 0
		.amdhsa_exception_fp_ieee_invalid_op 0
		.amdhsa_exception_fp_denorm_src 0
		.amdhsa_exception_fp_ieee_div_zero 0
		.amdhsa_exception_fp_ieee_overflow 0
		.amdhsa_exception_fp_ieee_underflow 0
		.amdhsa_exception_fp_ieee_inexact 0
		.amdhsa_exception_int_div_zero 0
	.end_amdhsa_kernel
	.section	.text._ZL27cross_entropy_loss_back_f32ILb1EEvPKfS1_S1_Pfi,"axG",@progbits,_ZL27cross_entropy_loss_back_f32ILb1EEvPKfS1_S1_Pfi,comdat
.Lfunc_end2:
	.size	_ZL27cross_entropy_loss_back_f32ILb1EEvPKfS1_S1_Pfi, .Lfunc_end2-_ZL27cross_entropy_loss_back_f32ILb1EEvPKfS1_S1_Pfi
                                        ; -- End function
	.set _ZL27cross_entropy_loss_back_f32ILb1EEvPKfS1_S1_Pfi.num_vgpr, 46
	.set _ZL27cross_entropy_loss_back_f32ILb1EEvPKfS1_S1_Pfi.num_agpr, 0
	.set _ZL27cross_entropy_loss_back_f32ILb1EEvPKfS1_S1_Pfi.numbered_sgpr, 20
	.set _ZL27cross_entropy_loss_back_f32ILb1EEvPKfS1_S1_Pfi.num_named_barrier, 0
	.set _ZL27cross_entropy_loss_back_f32ILb1EEvPKfS1_S1_Pfi.private_seg_size, 0
	.set _ZL27cross_entropy_loss_back_f32ILb1EEvPKfS1_S1_Pfi.uses_vcc, 1
	.set _ZL27cross_entropy_loss_back_f32ILb1EEvPKfS1_S1_Pfi.uses_flat_scratch, 0
	.set _ZL27cross_entropy_loss_back_f32ILb1EEvPKfS1_S1_Pfi.has_dyn_sized_stack, 0
	.set _ZL27cross_entropy_loss_back_f32ILb1EEvPKfS1_S1_Pfi.has_recursion, 0
	.set _ZL27cross_entropy_loss_back_f32ILb1EEvPKfS1_S1_Pfi.has_indirect_call, 0
	.section	.AMDGPU.csdata,"",@progbits
; Kernel info:
; codeLenInByte = 2020
; TotalNumSgprs: 26
; NumVgprs: 46
; NumAgprs: 0
; TotalNumVgprs: 46
; ScratchSize: 0
; MemoryBound: 0
; FloatMode: 240
; IeeeMode: 1
; LDSByteSize: 0 bytes/workgroup (compile time only)
; SGPRBlocks: 3
; VGPRBlocks: 5
; NumSGPRsForWavesPerEU: 26
; NumVGPRsForWavesPerEU: 46
; AccumOffset: 48
; Occupancy: 8
; WaveLimiterHint : 0
; COMPUTE_PGM_RSRC2:SCRATCH_EN: 0
; COMPUTE_PGM_RSRC2:USER_SGPR: 2
; COMPUTE_PGM_RSRC2:TRAP_HANDLER: 0
; COMPUTE_PGM_RSRC2:TGID_X_EN: 1
; COMPUTE_PGM_RSRC2:TGID_Y_EN: 0
; COMPUTE_PGM_RSRC2:TGID_Z_EN: 0
; COMPUTE_PGM_RSRC2:TIDIG_COMP_CNT: 0
; COMPUTE_PGM_RSRC3_GFX90A:ACCUM_OFFSET: 11
; COMPUTE_PGM_RSRC3_GFX90A:TG_SPLIT: 0
	.section	.text._ZL27cross_entropy_loss_back_f32ILb0EEvPKfS1_S1_Pfi,"axG",@progbits,_ZL27cross_entropy_loss_back_f32ILb0EEvPKfS1_S1_Pfi,comdat
	.globl	_ZL27cross_entropy_loss_back_f32ILb0EEvPKfS1_S1_Pfi ; -- Begin function _ZL27cross_entropy_loss_back_f32ILb0EEvPKfS1_S1_Pfi
	.p2align	8
	.type	_ZL27cross_entropy_loss_back_f32ILb0EEvPKfS1_S1_Pfi,@function
_ZL27cross_entropy_loss_back_f32ILb0EEvPKfS1_S1_Pfi: ; @_ZL27cross_entropy_loss_back_f32ILb0EEvPKfS1_S1_Pfi
; %bb.0:
	s_load_dword s20, s[0:1], 0x20
	s_load_dwordx2 s[10:11], s[0:1], 0x8
	v_mov_b32_e32 v7, 0xff800000
	s_waitcnt lgkmcnt(0)
	s_ashr_i32 s3, s20, 31
	s_mul_hi_u32 s4, s20, s2
	s_mul_i32 s3, s3, s2
	s_add_i32 s9, s4, s3
	s_mul_i32 s8, s20, s2
	v_cmp_gt_i32_e32 vcc, s20, v0
	v_xad_u32 v8, v0, -1, s20
	s_and_saveexec_b64 s[6:7], vcc
	s_cbranch_execz .LBB3_10
; %bb.1:
	v_cmp_lt_u32_e64 s[2:3], 31, v8
	s_mov_b64 s[14:15], -1
	v_mov_b32_e32 v7, 0xff800000
	v_mov_b32_e32 v2, v0
	s_and_saveexec_b64 s[12:13], s[2:3]
	s_cbranch_execz .LBB3_5
; %bb.2:
	v_lshrrev_b32_e32 v1, 5, v8
	s_lshl_b64 s[2:3], s[8:9], 2
	v_add_u32_e32 v6, 1, v1
	s_add_u32 s14, s10, s2
	v_add_u32_e32 v1, 32, v0
	s_mov_b32 s21, 2
	s_addc_u32 s15, s11, s3
	v_and_b32_e32 v9, 0xffffffe, v6
	v_mov_b32_e32 v7, 0xff800000
	s_mov_b64 s[18:19], 0
	v_mov_b32_e32 v3, 0
	v_mov_b64_e32 v[4:5], v[0:1]
	v_mov_b32_e32 v10, 0xff800000
                                        ; implicit-def: $sgpr16_sgpr17
.LBB3_3:                                ; =>This Inner Loop Header: Depth=1
	v_mov_b32_e32 v2, v4
	v_lshl_add_u64 v[12:13], v[2:3], 2, s[14:15]
	v_mov_b32_e32 v2, v5
	global_load_dword v14, v[12:13], off
	v_lshl_add_u64 v[12:13], v[2:3], 2, s[14:15]
	global_load_dword v12, v[12:13], off
	v_cmp_eq_u32_e64 s[2:3], s21, v9
	s_add_i32 s21, s21, 2
	v_mov_b32_e32 v1, v7
	v_mov_b32_e32 v2, v10
	v_max_f32_e32 v10, v2, v2
	v_max_f32_e32 v7, v1, v1
	v_add_u32_e32 v4, 64, v4
	v_add_u32_e32 v5, 64, v5
	v_mov_b32_e32 v11, s21
	s_waitcnt vmcnt(1)
	v_cmp_u_f32_e64 s[4:5], v14, v14
	v_max_f32_e32 v13, v14, v14
	s_nop 0
	v_cndmask_b32_e64 v14, 0, 1, s[4:5]
	s_waitcnt vmcnt(0)
	v_cmp_u_f32_e64 s[4:5], v12, v12
	v_max_f32_e32 v15, v12, v12
	v_max_f32_e32 v7, v7, v13
	v_cndmask_b32_e64 v12, 0, 1, s[4:5]
	v_lshlrev_b16_e32 v12, 1, v12
	v_bitop3_b16 v12, v14, 3, v12 bitop3:0xc8
	v_cmp_ne_u16_e64 s[4:5], 0, v12
	s_or_b64 s[2:3], s[4:5], s[2:3]
	s_and_b64 s[2:3], exec, s[2:3]
	s_or_b64 s[18:19], s[2:3], s[18:19]
	s_andn2_b64 s[2:3], s[16:17], exec
	s_and_b64 s[4:5], s[4:5], exec
	v_max_f32_e32 v10, v10, v15
	s_or_b64 s[16:17], s[2:3], s[4:5]
	s_andn2_b64 exec, exec, s[18:19]
	s_cbranch_execnz .LBB3_3
; %bb.4:
	s_or_b64 exec, exec, s[18:19]
	v_add_u32_e32 v3, -4, v11
	v_cndmask_b32_e64 v1, v7, v1, s[16:17]
	v_cndmask_b32_e64 v2, v10, v2, s[16:17]
	v_cmp_ne_u32_e64 s[2:3], v6, v9
	v_cndmask_b32_e64 v3, v9, v3, s[16:17]
	v_max_f32_e32 v2, v2, v2
	v_max_f32_e32 v1, v1, v1
	s_or_b64 s[2:3], s[2:3], s[16:17]
	v_max_f32_e32 v7, v1, v2
	v_lshl_add_u32 v2, v3, 5, v0
	s_orn2_b64 s[14:15], s[2:3], exec
.LBB3_5:
	s_or_b64 exec, exec, s[12:13]
	s_and_saveexec_b64 s[4:5], s[14:15]
	s_cbranch_execz .LBB3_9
; %bb.6:
	s_lshl_b64 s[2:3], s[8:9], 2
	s_add_u32 s2, s10, s2
	v_mov_b32_e32 v3, 0
	s_addc_u32 s3, s11, s3
	v_lshl_add_u64 v[4:5], v[2:3], 2, s[2:3]
	s_mov_b64 s[12:13], 0
	s_mov_b64 s[14:15], 0x80
.LBB3_7:                                ; =>This Inner Loop Header: Depth=1
	global_load_dword v1, v[4:5], off
	v_add_u32_e32 v2, 32, v2
	v_max_f32_e32 v3, v7, v7
	v_cmp_le_i32_e64 s[2:3], s20, v2
	v_lshl_add_u64 v[4:5], v[4:5], 0, s[14:15]
	s_or_b64 s[12:13], s[2:3], s[12:13]
	s_waitcnt vmcnt(0)
	v_max_f32_e32 v1, v1, v1
	v_max_f32_e32 v7, v3, v1
	s_andn2_b64 exec, exec, s[12:13]
	s_cbranch_execnz .LBB3_7
; %bb.8:
	s_or_b64 exec, exec, s[12:13]
.LBB3_9:
	s_or_b64 exec, exec, s[4:5]
.LBB3_10:
	s_or_b64 exec, exec, s[6:7]
	v_mbcnt_lo_u32_b32 v1, -1, 0
	v_mbcnt_hi_u32_b32 v3, -1, v1
	v_and_b32_e32 v1, 0x60, v3
	v_add_u32_e32 v4, 32, v1
	v_xor_b32_e32 v1, 16, v3
	v_cmp_lt_i32_e64 s[2:3], v1, v4
	v_xor_b32_e32 v6, 8, v3
	v_max_f32_e32 v5, v7, v7
	v_cndmask_b32_e64 v1, v3, v1, s[2:3]
	v_lshlrev_b32_e32 v1, 2, v1
	ds_bpermute_b32 v2, v1, v7
	v_cmp_lt_i32_e64 s[2:3], v6, v4
	s_load_dwordx2 s[12:13], s[0:1], 0x0
	s_load_dwordx4 s[4:7], s[0:1], 0x10
	s_waitcnt lgkmcnt(0)
	v_max_f32_e32 v2, v2, v2
	v_max_f32_e32 v2, v5, v2
	v_cndmask_b32_e64 v5, v3, v6, s[2:3]
	v_lshlrev_b32_e32 v9, 2, v5
	ds_bpermute_b32 v5, v9, v2
	v_xor_b32_e32 v6, 4, v3
	v_cmp_lt_i32_e64 s[2:3], v6, v4
	s_waitcnt lgkmcnt(0)
	v_max_f32_e32 v5, v5, v5
	v_max_f32_e32 v2, v2, v5
	v_cndmask_b32_e64 v5, v3, v6, s[2:3]
	v_lshlrev_b32_e32 v10, 2, v5
	ds_bpermute_b32 v5, v10, v2
	v_xor_b32_e32 v6, 2, v3
	v_cmp_lt_i32_e64 s[2:3], v6, v4
	s_waitcnt lgkmcnt(0)
	v_max_f32_e32 v5, v5, v5
	v_max_f32_e32 v2, v2, v5
	v_cndmask_b32_e64 v5, v3, v6, s[2:3]
	v_lshlrev_b32_e32 v11, 2, v5
	ds_bpermute_b32 v5, v11, v2
	s_waitcnt lgkmcnt(0)
	v_max_f32_e32 v5, v5, v5
	v_max_f32_e32 v2, v2, v5
	v_xor_b32_e32 v5, 1, v3
	v_cmp_lt_i32_e64 s[2:3], v5, v4
	s_nop 1
	v_cndmask_b32_e64 v3, v3, v5, s[2:3]
	v_lshlrev_b32_e32 v12, 2, v3
	ds_bpermute_b32 v4, v12, v2
	v_mov_b32_e32 v3, 0
	s_and_saveexec_b64 s[14:15], vcc
	s_cbranch_execz .LBB3_14
; %bb.11:
	s_waitcnt lgkmcnt(0)
	v_max_f32_e32 v3, v4, v4
	v_max_f32_e32 v2, v2, v2
	;; [unrolled: 1-line block ×3, first 2 shown]
	v_lshlrev_b32_e32 v2, 2, v0
	v_mov_b32_e32 v3, 0
	v_lshl_add_u64 v[6:7], s[8:9], 2, v[2:3]
	v_lshl_add_u64 v[4:5], s[10:11], 0, v[6:7]
	;; [unrolled: 1-line block ×3, first 2 shown]
	s_mov_b64 s[10:11], 0
	s_mov_b32 s18, 0x3fb8aa3b
	s_mov_b32 s19, 0xc2ce8ed0
	;; [unrolled: 1-line block ×3, first 2 shown]
	v_mov_b32_e32 v2, 0x7f800000
	s_mov_b64 s[16:17], 0x80
	v_mov_b32_e32 v14, v0
.LBB3_12:                               ; =>This Inner Loop Header: Depth=1
	global_load_dword v15, v[4:5], off
	v_add_u32_e32 v14, 32, v14
	v_cmp_le_i32_e64 s[2:3], s20, v14
	s_or_b64 s[10:11], s[2:3], s[10:11]
	v_lshl_add_u64 v[4:5], v[4:5], 0, s[16:17]
	s_waitcnt vmcnt(0)
	v_sub_f32_e32 v15, v15, v13
	v_mul_f32_e32 v16, 0x3fb8aa3b, v15
	v_fma_f32 v17, v15, s18, -v16
	v_rndne_f32_e32 v18, v16
	v_fmac_f32_e32 v17, 0x32a5705f, v15
	v_sub_f32_e32 v16, v16, v18
	v_add_f32_e32 v16, v16, v17
	v_cvt_i32_f32_e32 v18, v18
	v_exp_f32_e32 v16, v16
	v_cmp_ngt_f32_e64 s[2:3], s19, v15
	v_ldexp_f32 v16, v16, v18
	s_nop 0
	v_cndmask_b32_e64 v16, 0, v16, s[2:3]
	v_cmp_nlt_f32_e64 s[2:3], s21, v15
	s_nop 1
	v_cndmask_b32_e64 v15, v2, v16, s[2:3]
	v_add_f32_e32 v3, v3, v15
	global_store_dword v[6:7], v15, off
	v_lshl_add_u64 v[6:7], v[6:7], 0, s[16:17]
	s_andn2_b64 exec, exec, s[10:11]
	s_cbranch_execnz .LBB3_12
; %bb.13:
	s_or_b64 exec, exec, s[10:11]
.LBB3_14:
	s_or_b64 exec, exec, s[14:15]
	ds_bpermute_b32 v1, v1, v3
	s_waitcnt lgkmcnt(0)
	v_add_f32_e32 v1, v3, v1
	ds_bpermute_b32 v2, v9, v1
	s_waitcnt lgkmcnt(0)
	v_add_f32_e32 v1, v1, v2
	;; [unrolled: 3-line block ×4, first 2 shown]
	ds_bpermute_b32 v2, v12, v1
	s_and_saveexec_b64 s[2:3], vcc
	s_cbranch_execz .LBB3_22
; %bb.15:
	s_waitcnt lgkmcnt(0)
	v_add_f32_e32 v1, v1, v2
	v_div_scale_f32 v2, s[2:3], v1, v1, 1.0
	v_rcp_f32_e32 v3, v2
	s_load_dword s0, s[0:1], 0x28
	v_fma_f32 v4, -v2, v3, 1.0
	s_load_dword s2, s[12:13], 0x0
	v_fmac_f32_e32 v3, v4, v3
	v_div_scale_f32 v4, vcc, 1.0, v1, 1.0
	s_waitcnt lgkmcnt(0)
	v_cvt_f32_u32_e32 v7, s0
	v_mul_f32_e32 v5, v4, v3
	v_fma_f32 v6, -v2, v5, v4
	v_fmac_f32_e32 v5, v6, v3
	v_fma_f32 v2, -v2, v5, v4
	v_div_scale_f32 v4, s[0:1], v7, v7, s2
	v_rcp_f32_e32 v6, v4
	v_div_fmas_f32 v2, v2, v3, v5
	v_div_fixup_f32 v2, v2, v1, 1.0
	v_fma_f32 v1, -v4, v6, 1.0
	v_fmac_f32_e32 v6, v1, v6
	v_div_scale_f32 v1, vcc, s2, v7, s2
	v_mul_f32_e32 v3, v1, v6
	v_fma_f32 v5, -v4, v3, v1
	v_fmac_f32_e32 v3, v5, v6
	v_fma_f32 v1, -v4, v3, v1
	v_div_fmas_f32 v1, v1, v6, v3
	v_div_fixup_f32 v4, v1, v7, s2
	v_cmp_lt_u32_e32 vcc, 31, v8
	s_mov_b64 s[2:3], -1
	s_and_saveexec_b64 s[0:1], vcc
	s_cbranch_execz .LBB3_19
; %bb.16:
	s_lshl_b64 s[10:11], s[8:9], 2
	v_lshrrev_b32_e32 v1, 5, v8
	s_add_u32 s2, s4, s10
	v_add_u32_e32 v10, 1, v1
	s_addc_u32 s3, s5, s11
	s_add_u32 s10, s6, s10
	v_and_b32_e32 v11, 0xffffffe, v10
	v_add_u32_e32 v1, 32, v0
	s_addc_u32 s11, s7, s11
	v_mov_b32_e32 v3, v2
	v_mov_b32_e32 v5, v4
	s_mov_b64 s[12:13], 0
	v_mov_b32_e32 v7, 0
	v_mov_b32_e32 v12, v11
	v_mov_b64_e32 v[8:9], v[0:1]
.LBB3_17:                               ; =>This Inner Loop Header: Depth=1
	v_mov_b32_e32 v6, v8
	v_lshlrev_b64 v[14:15], 2, v[6:7]
	v_mov_b32_e32 v6, v9
	v_lshl_add_u64 v[16:17], s[10:11], 0, v[14:15]
	v_lshlrev_b64 v[18:19], 2, v[6:7]
	v_lshl_add_u64 v[14:15], s[2:3], 0, v[14:15]
	v_lshl_add_u64 v[20:21], s[10:11], 0, v[18:19]
	;; [unrolled: 1-line block ×3, first 2 shown]
	global_load_dword v22, v[14:15], off
	global_load_dword v24, v[16:17], off
	global_load_dword v25, v[20:21], off
	global_load_dword v23, v[18:19], off
	v_add_u32_e32 v12, -2, v12
	v_cmp_eq_u32_e32 vcc, 0, v12
	v_add_u32_e32 v8, 64, v8
	v_add_u32_e32 v9, 64, v9
	s_or_b64 s[12:13], vcc, s[12:13]
	s_waitcnt vmcnt(0)
	v_pk_fma_f32 v[14:15], v[2:3], v[24:25], v[22:23] neg_lo:[0,0,1] neg_hi:[0,0,1]
	s_nop 0
	v_pk_mul_f32 v[14:15], v[4:5], v[14:15]
	global_store_dword v[16:17], v14, off
	global_store_dword v[20:21], v15, off
	s_andn2_b64 exec, exec, s[12:13]
	s_cbranch_execnz .LBB3_17
; %bb.18:
	s_or_b64 exec, exec, s[12:13]
	v_cmp_ne_u32_e32 vcc, v10, v11
	v_lshl_add_u32 v0, v11, 5, v0
	s_orn2_b64 s[2:3], vcc, exec
.LBB3_19:
	s_or_b64 exec, exec, s[0:1]
	s_and_b64 exec, exec, s[2:3]
	s_cbranch_execz .LBB3_22
; %bb.20:
	v_mov_b32_e32 v1, 0
	v_lshlrev_b64 v[6:7], 2, v[0:1]
	v_lshl_add_u64 v[8:9], s[8:9], 2, v[6:7]
	v_lshl_add_u64 v[6:7], s[6:7], 0, v[8:9]
	;; [unrolled: 1-line block ×3, first 2 shown]
	s_mov_b64 s[0:1], 0
	s_mov_b64 s[2:3], 0x80
.LBB3_21:                               ; =>This Inner Loop Header: Depth=1
	global_load_dword v1, v[6:7], off
	global_load_dword v3, v[8:9], off
	v_add_u32_e32 v0, 32, v0
	v_cmp_le_i32_e32 vcc, s20, v0
	s_or_b64 s[0:1], vcc, s[0:1]
	v_lshl_add_u64 v[8:9], v[8:9], 0, s[2:3]
	s_waitcnt vmcnt(0)
	v_fma_f32 v1, v2, v1, -v3
	v_mul_f32_e32 v1, v4, v1
	global_store_dword v[6:7], v1, off
	v_lshl_add_u64 v[6:7], v[6:7], 0, s[2:3]
	s_andn2_b64 exec, exec, s[0:1]
	s_cbranch_execnz .LBB3_21
.LBB3_22:
	s_endpgm
	.section	.rodata,"a",@progbits
	.p2align	6, 0x0
	.amdhsa_kernel _ZL27cross_entropy_loss_back_f32ILb0EEvPKfS1_S1_Pfi
		.amdhsa_group_segment_fixed_size 0
		.amdhsa_private_segment_fixed_size 0
		.amdhsa_kernarg_size 296
		.amdhsa_user_sgpr_count 2
		.amdhsa_user_sgpr_dispatch_ptr 0
		.amdhsa_user_sgpr_queue_ptr 0
		.amdhsa_user_sgpr_kernarg_segment_ptr 1
		.amdhsa_user_sgpr_dispatch_id 0
		.amdhsa_user_sgpr_kernarg_preload_length 0
		.amdhsa_user_sgpr_kernarg_preload_offset 0
		.amdhsa_user_sgpr_private_segment_size 0
		.amdhsa_uses_dynamic_stack 0
		.amdhsa_enable_private_segment 0
		.amdhsa_system_sgpr_workgroup_id_x 1
		.amdhsa_system_sgpr_workgroup_id_y 0
		.amdhsa_system_sgpr_workgroup_id_z 0
		.amdhsa_system_sgpr_workgroup_info 0
		.amdhsa_system_vgpr_workitem_id 0
		.amdhsa_next_free_vgpr 26
		.amdhsa_next_free_sgpr 22
		.amdhsa_accum_offset 28
		.amdhsa_reserve_vcc 1
		.amdhsa_float_round_mode_32 0
		.amdhsa_float_round_mode_16_64 0
		.amdhsa_float_denorm_mode_32 3
		.amdhsa_float_denorm_mode_16_64 3
		.amdhsa_dx10_clamp 1
		.amdhsa_ieee_mode 1
		.amdhsa_fp16_overflow 0
		.amdhsa_tg_split 0
		.amdhsa_exception_fp_ieee_invalid_op 0
		.amdhsa_exception_fp_denorm_src 0
		.amdhsa_exception_fp_ieee_div_zero 0
		.amdhsa_exception_fp_ieee_overflow 0
		.amdhsa_exception_fp_ieee_underflow 0
		.amdhsa_exception_fp_ieee_inexact 0
		.amdhsa_exception_int_div_zero 0
	.end_amdhsa_kernel
	.section	.text._ZL27cross_entropy_loss_back_f32ILb0EEvPKfS1_S1_Pfi,"axG",@progbits,_ZL27cross_entropy_loss_back_f32ILb0EEvPKfS1_S1_Pfi,comdat
.Lfunc_end3:
	.size	_ZL27cross_entropy_loss_back_f32ILb0EEvPKfS1_S1_Pfi, .Lfunc_end3-_ZL27cross_entropy_loss_back_f32ILb0EEvPKfS1_S1_Pfi
                                        ; -- End function
	.set _ZL27cross_entropy_loss_back_f32ILb0EEvPKfS1_S1_Pfi.num_vgpr, 26
	.set _ZL27cross_entropy_loss_back_f32ILb0EEvPKfS1_S1_Pfi.num_agpr, 0
	.set _ZL27cross_entropy_loss_back_f32ILb0EEvPKfS1_S1_Pfi.numbered_sgpr, 22
	.set _ZL27cross_entropy_loss_back_f32ILb0EEvPKfS1_S1_Pfi.num_named_barrier, 0
	.set _ZL27cross_entropy_loss_back_f32ILb0EEvPKfS1_S1_Pfi.private_seg_size, 0
	.set _ZL27cross_entropy_loss_back_f32ILb0EEvPKfS1_S1_Pfi.uses_vcc, 1
	.set _ZL27cross_entropy_loss_back_f32ILb0EEvPKfS1_S1_Pfi.uses_flat_scratch, 0
	.set _ZL27cross_entropy_loss_back_f32ILb0EEvPKfS1_S1_Pfi.has_dyn_sized_stack, 0
	.set _ZL27cross_entropy_loss_back_f32ILb0EEvPKfS1_S1_Pfi.has_recursion, 0
	.set _ZL27cross_entropy_loss_back_f32ILb0EEvPKfS1_S1_Pfi.has_indirect_call, 0
	.section	.AMDGPU.csdata,"",@progbits
; Kernel info:
; codeLenInByte = 1728
; TotalNumSgprs: 28
; NumVgprs: 26
; NumAgprs: 0
; TotalNumVgprs: 26
; ScratchSize: 0
; MemoryBound: 0
; FloatMode: 240
; IeeeMode: 1
; LDSByteSize: 0 bytes/workgroup (compile time only)
; SGPRBlocks: 3
; VGPRBlocks: 3
; NumSGPRsForWavesPerEU: 28
; NumVGPRsForWavesPerEU: 26
; AccumOffset: 28
; Occupancy: 8
; WaveLimiterHint : 0
; COMPUTE_PGM_RSRC2:SCRATCH_EN: 0
; COMPUTE_PGM_RSRC2:USER_SGPR: 2
; COMPUTE_PGM_RSRC2:TRAP_HANDLER: 0
; COMPUTE_PGM_RSRC2:TGID_X_EN: 1
; COMPUTE_PGM_RSRC2:TGID_Y_EN: 0
; COMPUTE_PGM_RSRC2:TGID_Z_EN: 0
; COMPUTE_PGM_RSRC2:TIDIG_COMP_CNT: 0
; COMPUTE_PGM_RSRC3_GFX90A:ACCUM_OFFSET: 6
; COMPUTE_PGM_RSRC3_GFX90A:TG_SPLIT: 0
	.section	.AMDGPU.gpr_maximums,"",@progbits
	.set amdgpu.max_num_vgpr, 0
	.set amdgpu.max_num_agpr, 0
	.set amdgpu.max_num_sgpr, 0
	.section	.AMDGPU.csdata,"",@progbits
	.type	__hip_cuid_26304a44b28dc71,@object ; @__hip_cuid_26304a44b28dc71
	.section	.bss,"aw",@nobits
	.globl	__hip_cuid_26304a44b28dc71
__hip_cuid_26304a44b28dc71:
	.byte	0                               ; 0x0
	.size	__hip_cuid_26304a44b28dc71, 1

	.ident	"AMD clang version 22.0.0git (https://github.com/RadeonOpenCompute/llvm-project roc-7.2.4 26084 f58b06dce1f9c15707c5f808fd002e18c2accf7e)"
	.section	".note.GNU-stack","",@progbits
	.addrsig
	.addrsig_sym __hip_cuid_26304a44b28dc71
	.amdgpu_metadata
---
amdhsa.kernels:
  - .agpr_count:     0
    .args:
      - .actual_access:  read_only
        .address_space:  global
        .offset:         0
        .size:           8
        .value_kind:     global_buffer
      - .actual_access:  read_only
        .address_space:  global
        .offset:         8
        .size:           8
        .value_kind:     global_buffer
      - .actual_access:  write_only
        .address_space:  global
        .offset:         16
        .size:           8
        .value_kind:     global_buffer
      - .offset:         24
        .size:           4
        .value_kind:     by_value
      - .offset:         28
        .size:           4
        .value_kind:     by_value
    .group_segment_fixed_size: 0
    .kernarg_segment_align: 8
    .kernarg_segment_size: 32
    .language:       OpenCL C
    .language_version:
      - 2
      - 0
    .max_flat_workgroup_size: 1024
    .name:           _ZL22cross_entropy_loss_f32ILb1EEvPKfS1_Pfii
    .private_segment_fixed_size: 0
    .sgpr_count:     26
    .sgpr_spill_count: 0
    .symbol:         _ZL22cross_entropy_loss_f32ILb1EEvPKfS1_Pfii.kd
    .uniform_work_group_size: 1
    .uses_dynamic_stack: false
    .vgpr_count:     16
    .vgpr_spill_count: 0
    .wavefront_size: 64
  - .agpr_count:     0
    .args:
      - .actual_access:  read_only
        .address_space:  global
        .offset:         0
        .size:           8
        .value_kind:     global_buffer
      - .actual_access:  read_only
        .address_space:  global
        .offset:         8
        .size:           8
        .value_kind:     global_buffer
      - .actual_access:  write_only
        .address_space:  global
        .offset:         16
        .size:           8
        .value_kind:     global_buffer
      - .offset:         24
        .size:           4
        .value_kind:     by_value
      - .offset:         28
        .size:           4
        .value_kind:     by_value
    .group_segment_fixed_size: 0
    .kernarg_segment_align: 8
    .kernarg_segment_size: 32
    .language:       OpenCL C
    .language_version:
      - 2
      - 0
    .max_flat_workgroup_size: 1024
    .name:           _ZL22cross_entropy_loss_f32ILb0EEvPKfS1_Pfii
    .private_segment_fixed_size: 0
    .sgpr_count:     30
    .sgpr_spill_count: 0
    .symbol:         _ZL22cross_entropy_loss_f32ILb0EEvPKfS1_Pfii.kd
    .uniform_work_group_size: 1
    .uses_dynamic_stack: false
    .vgpr_count:     17
    .vgpr_spill_count: 0
    .wavefront_size: 64
  - .agpr_count:     0
    .args:
      - .actual_access:  read_only
        .address_space:  global
        .offset:         0
        .size:           8
        .value_kind:     global_buffer
      - .actual_access:  read_only
        .address_space:  global
        .offset:         8
        .size:           8
        .value_kind:     global_buffer
      - .actual_access:  read_only
        .address_space:  global
        .offset:         16
        .size:           8
        .value_kind:     global_buffer
      - .actual_access:  write_only
        .address_space:  global
        .offset:         24
        .size:           8
        .value_kind:     global_buffer
      - .offset:         32
        .size:           4
        .value_kind:     by_value
      - .offset:         40
        .size:           4
        .value_kind:     hidden_block_count_x
      - .offset:         44
        .size:           4
        .value_kind:     hidden_block_count_y
      - .offset:         48
        .size:           4
        .value_kind:     hidden_block_count_z
      - .offset:         52
        .size:           2
        .value_kind:     hidden_group_size_x
      - .offset:         54
        .size:           2
        .value_kind:     hidden_group_size_y
      - .offset:         56
        .size:           2
        .value_kind:     hidden_group_size_z
      - .offset:         58
        .size:           2
        .value_kind:     hidden_remainder_x
      - .offset:         60
        .size:           2
        .value_kind:     hidden_remainder_y
      - .offset:         62
        .size:           2
        .value_kind:     hidden_remainder_z
      - .offset:         80
        .size:           8
        .value_kind:     hidden_global_offset_x
      - .offset:         88
        .size:           8
        .value_kind:     hidden_global_offset_y
      - .offset:         96
        .size:           8
        .value_kind:     hidden_global_offset_z
      - .offset:         104
        .size:           2
        .value_kind:     hidden_grid_dims
      - .offset:         160
        .size:           4
        .value_kind:     hidden_dynamic_lds_size
    .group_segment_fixed_size: 0
    .kernarg_segment_align: 8
    .kernarg_segment_size: 296
    .language:       OpenCL C
    .language_version:
      - 2
      - 0
    .max_flat_workgroup_size: 1024
    .name:           _ZL27cross_entropy_loss_back_f32ILb1EEvPKfS1_S1_Pfi
    .private_segment_fixed_size: 0
    .sgpr_count:     26
    .sgpr_spill_count: 0
    .symbol:         _ZL27cross_entropy_loss_back_f32ILb1EEvPKfS1_S1_Pfi.kd
    .uniform_work_group_size: 1
    .uses_dynamic_stack: false
    .vgpr_count:     46
    .vgpr_spill_count: 0
    .wavefront_size: 64
  - .agpr_count:     0
    .args:
      - .actual_access:  read_only
        .address_space:  global
        .offset:         0
        .size:           8
        .value_kind:     global_buffer
      - .actual_access:  read_only
        .address_space:  global
        .offset:         8
        .size:           8
        .value_kind:     global_buffer
      - .actual_access:  read_only
        .address_space:  global
        .offset:         16
        .size:           8
        .value_kind:     global_buffer
      - .address_space:  global
        .offset:         24
        .size:           8
        .value_kind:     global_buffer
      - .offset:         32
        .size:           4
        .value_kind:     by_value
      - .offset:         40
        .size:           4
        .value_kind:     hidden_block_count_x
      - .offset:         44
        .size:           4
        .value_kind:     hidden_block_count_y
      - .offset:         48
        .size:           4
        .value_kind:     hidden_block_count_z
      - .offset:         52
        .size:           2
        .value_kind:     hidden_group_size_x
      - .offset:         54
        .size:           2
        .value_kind:     hidden_group_size_y
      - .offset:         56
        .size:           2
        .value_kind:     hidden_group_size_z
      - .offset:         58
        .size:           2
        .value_kind:     hidden_remainder_x
      - .offset:         60
        .size:           2
        .value_kind:     hidden_remainder_y
      - .offset:         62
        .size:           2
        .value_kind:     hidden_remainder_z
      - .offset:         80
        .size:           8
        .value_kind:     hidden_global_offset_x
      - .offset:         88
        .size:           8
        .value_kind:     hidden_global_offset_y
      - .offset:         96
        .size:           8
        .value_kind:     hidden_global_offset_z
      - .offset:         104
        .size:           2
        .value_kind:     hidden_grid_dims
    .group_segment_fixed_size: 0
    .kernarg_segment_align: 8
    .kernarg_segment_size: 296
    .language:       OpenCL C
    .language_version:
      - 2
      - 0
    .max_flat_workgroup_size: 1024
    .name:           _ZL27cross_entropy_loss_back_f32ILb0EEvPKfS1_S1_Pfi
    .private_segment_fixed_size: 0
    .sgpr_count:     28
    .sgpr_spill_count: 0
    .symbol:         _ZL27cross_entropy_loss_back_f32ILb0EEvPKfS1_S1_Pfi.kd
    .uniform_work_group_size: 1
    .uses_dynamic_stack: false
    .vgpr_count:     26
    .vgpr_spill_count: 0
    .wavefront_size: 64
amdhsa.target:   amdgcn-amd-amdhsa--gfx950
amdhsa.version:
  - 1
  - 2
...

	.end_amdgpu_metadata
